;; amdgpu-corpus repo=ROCm/rocFFT kind=compiled arch=gfx1201 opt=O3
	.text
	.amdgcn_target "amdgcn-amd-amdhsa--gfx1201"
	.amdhsa_code_object_version 6
	.protected	fft_rtc_fwd_len1050_factors_2_3_5_5_7_wgs_210_tpt_210_sp_ip_CI_unitstride_sbrr_R2C_dirReg ; -- Begin function fft_rtc_fwd_len1050_factors_2_3_5_5_7_wgs_210_tpt_210_sp_ip_CI_unitstride_sbrr_R2C_dirReg
	.globl	fft_rtc_fwd_len1050_factors_2_3_5_5_7_wgs_210_tpt_210_sp_ip_CI_unitstride_sbrr_R2C_dirReg
	.p2align	8
	.type	fft_rtc_fwd_len1050_factors_2_3_5_5_7_wgs_210_tpt_210_sp_ip_CI_unitstride_sbrr_R2C_dirReg,@function
fft_rtc_fwd_len1050_factors_2_3_5_5_7_wgs_210_tpt_210_sp_ip_CI_unitstride_sbrr_R2C_dirReg: ; @fft_rtc_fwd_len1050_factors_2_3_5_5_7_wgs_210_tpt_210_sp_ip_CI_unitstride_sbrr_R2C_dirReg
; %bb.0:
	s_clause 0x2
	s_load_b128 s[4:7], s[0:1], 0x0
	s_load_b64 s[8:9], s[0:1], 0x50
	s_load_b64 s[10:11], s[0:1], 0x18
	v_mul_u32_u24_e32 v1, 0x139, v0
	v_mov_b32_e32 v3, 0
	s_delay_alu instid0(VALU_DEP_2) | instskip(NEXT) | instid1(VALU_DEP_1)
	v_lshrrev_b32_e32 v1, 16, v1
	v_add_nc_u32_e32 v5, ttmp9, v1
	v_mov_b32_e32 v1, 0
	v_mov_b32_e32 v2, 0
	;; [unrolled: 1-line block ×3, first 2 shown]
	s_wait_kmcnt 0x0
	v_cmp_lt_u64_e64 s2, s[6:7], 2
	s_delay_alu instid0(VALU_DEP_1)
	s_and_b32 vcc_lo, exec_lo, s2
	s_cbranch_vccnz .LBB0_8
; %bb.1:
	s_load_b64 s[2:3], s[0:1], 0x10
	v_mov_b32_e32 v1, 0
	v_mov_b32_e32 v2, 0
	s_add_nc_u64 s[12:13], s[10:11], 8
	s_mov_b64 s[14:15], 1
	s_wait_kmcnt 0x0
	s_add_nc_u64 s[16:17], s[2:3], 8
	s_mov_b32 s3, 0
.LBB0_2:                                ; =>This Inner Loop Header: Depth=1
	s_load_b64 s[18:19], s[16:17], 0x0
                                        ; implicit-def: $vgpr7_vgpr8
	s_mov_b32 s2, exec_lo
	s_wait_kmcnt 0x0
	v_or_b32_e32 v4, s19, v6
	s_delay_alu instid0(VALU_DEP_1)
	v_cmpx_ne_u64_e32 0, v[3:4]
	s_wait_alu 0xfffe
	s_xor_b32 s20, exec_lo, s2
	s_cbranch_execz .LBB0_4
; %bb.3:                                ;   in Loop: Header=BB0_2 Depth=1
	s_cvt_f32_u32 s2, s18
	s_cvt_f32_u32 s21, s19
	s_sub_nc_u64 s[24:25], 0, s[18:19]
	s_wait_alu 0xfffe
	s_delay_alu instid0(SALU_CYCLE_1) | instskip(SKIP_1) | instid1(SALU_CYCLE_2)
	s_fmamk_f32 s2, s21, 0x4f800000, s2
	s_wait_alu 0xfffe
	v_s_rcp_f32 s2, s2
	s_delay_alu instid0(TRANS32_DEP_1) | instskip(SKIP_1) | instid1(SALU_CYCLE_2)
	s_mul_f32 s2, s2, 0x5f7ffffc
	s_wait_alu 0xfffe
	s_mul_f32 s21, s2, 0x2f800000
	s_wait_alu 0xfffe
	s_delay_alu instid0(SALU_CYCLE_2) | instskip(SKIP_1) | instid1(SALU_CYCLE_2)
	s_trunc_f32 s21, s21
	s_wait_alu 0xfffe
	s_fmamk_f32 s2, s21, 0xcf800000, s2
	s_cvt_u32_f32 s23, s21
	s_wait_alu 0xfffe
	s_delay_alu instid0(SALU_CYCLE_1) | instskip(SKIP_1) | instid1(SALU_CYCLE_2)
	s_cvt_u32_f32 s22, s2
	s_wait_alu 0xfffe
	s_mul_u64 s[26:27], s[24:25], s[22:23]
	s_wait_alu 0xfffe
	s_mul_hi_u32 s29, s22, s27
	s_mul_i32 s28, s22, s27
	s_mul_hi_u32 s2, s22, s26
	s_mul_i32 s30, s23, s26
	s_wait_alu 0xfffe
	s_add_nc_u64 s[28:29], s[2:3], s[28:29]
	s_mul_hi_u32 s21, s23, s26
	s_mul_hi_u32 s31, s23, s27
	s_add_co_u32 s2, s28, s30
	s_wait_alu 0xfffe
	s_add_co_ci_u32 s2, s29, s21
	s_mul_i32 s26, s23, s27
	s_add_co_ci_u32 s27, s31, 0
	s_wait_alu 0xfffe
	s_add_nc_u64 s[26:27], s[2:3], s[26:27]
	s_wait_alu 0xfffe
	v_add_co_u32 v4, s2, s22, s26
	s_delay_alu instid0(VALU_DEP_1) | instskip(SKIP_1) | instid1(VALU_DEP_1)
	s_cmp_lg_u32 s2, 0
	s_add_co_ci_u32 s23, s23, s27
	v_readfirstlane_b32 s22, v4
	s_wait_alu 0xfffe
	s_delay_alu instid0(VALU_DEP_1)
	s_mul_u64 s[24:25], s[24:25], s[22:23]
	s_wait_alu 0xfffe
	s_mul_hi_u32 s27, s22, s25
	s_mul_i32 s26, s22, s25
	s_mul_hi_u32 s2, s22, s24
	s_mul_i32 s28, s23, s24
	s_wait_alu 0xfffe
	s_add_nc_u64 s[26:27], s[2:3], s[26:27]
	s_mul_hi_u32 s21, s23, s24
	s_mul_hi_u32 s22, s23, s25
	s_wait_alu 0xfffe
	s_add_co_u32 s2, s26, s28
	s_add_co_ci_u32 s2, s27, s21
	s_mul_i32 s24, s23, s25
	s_add_co_ci_u32 s25, s22, 0
	s_wait_alu 0xfffe
	s_add_nc_u64 s[24:25], s[2:3], s[24:25]
	s_wait_alu 0xfffe
	v_add_co_u32 v4, s2, v4, s24
	s_delay_alu instid0(VALU_DEP_1) | instskip(SKIP_1) | instid1(VALU_DEP_1)
	s_cmp_lg_u32 s2, 0
	s_add_co_ci_u32 s2, s23, s25
	v_mul_hi_u32 v13, v5, v4
	s_wait_alu 0xfffe
	v_mad_co_u64_u32 v[7:8], null, v5, s2, 0
	v_mad_co_u64_u32 v[9:10], null, v6, v4, 0
	;; [unrolled: 1-line block ×3, first 2 shown]
	s_delay_alu instid0(VALU_DEP_3) | instskip(SKIP_1) | instid1(VALU_DEP_4)
	v_add_co_u32 v4, vcc_lo, v13, v7
	s_wait_alu 0xfffd
	v_add_co_ci_u32_e32 v7, vcc_lo, 0, v8, vcc_lo
	s_delay_alu instid0(VALU_DEP_2) | instskip(SKIP_1) | instid1(VALU_DEP_2)
	v_add_co_u32 v4, vcc_lo, v4, v9
	s_wait_alu 0xfffd
	v_add_co_ci_u32_e32 v4, vcc_lo, v7, v10, vcc_lo
	s_wait_alu 0xfffd
	v_add_co_ci_u32_e32 v7, vcc_lo, 0, v12, vcc_lo
	s_delay_alu instid0(VALU_DEP_2) | instskip(SKIP_1) | instid1(VALU_DEP_2)
	v_add_co_u32 v4, vcc_lo, v4, v11
	s_wait_alu 0xfffd
	v_add_co_ci_u32_e32 v9, vcc_lo, 0, v7, vcc_lo
	s_delay_alu instid0(VALU_DEP_2) | instskip(SKIP_1) | instid1(VALU_DEP_3)
	v_mul_lo_u32 v10, s19, v4
	v_mad_co_u64_u32 v[7:8], null, s18, v4, 0
	v_mul_lo_u32 v11, s18, v9
	s_delay_alu instid0(VALU_DEP_2) | instskip(NEXT) | instid1(VALU_DEP_2)
	v_sub_co_u32 v7, vcc_lo, v5, v7
	v_add3_u32 v8, v8, v11, v10
	s_delay_alu instid0(VALU_DEP_1) | instskip(SKIP_1) | instid1(VALU_DEP_1)
	v_sub_nc_u32_e32 v10, v6, v8
	s_wait_alu 0xfffd
	v_subrev_co_ci_u32_e64 v10, s2, s19, v10, vcc_lo
	v_add_co_u32 v11, s2, v4, 2
	s_wait_alu 0xf1ff
	v_add_co_ci_u32_e64 v12, s2, 0, v9, s2
	v_sub_co_u32 v13, s2, v7, s18
	v_sub_co_ci_u32_e32 v8, vcc_lo, v6, v8, vcc_lo
	s_wait_alu 0xf1ff
	v_subrev_co_ci_u32_e64 v10, s2, 0, v10, s2
	s_delay_alu instid0(VALU_DEP_3) | instskip(NEXT) | instid1(VALU_DEP_3)
	v_cmp_le_u32_e32 vcc_lo, s18, v13
	v_cmp_eq_u32_e64 s2, s19, v8
	s_wait_alu 0xfffd
	v_cndmask_b32_e64 v13, 0, -1, vcc_lo
	v_cmp_le_u32_e32 vcc_lo, s19, v10
	s_wait_alu 0xfffd
	v_cndmask_b32_e64 v14, 0, -1, vcc_lo
	v_cmp_le_u32_e32 vcc_lo, s18, v7
	;; [unrolled: 3-line block ×3, first 2 shown]
	s_wait_alu 0xfffd
	v_cndmask_b32_e64 v15, 0, -1, vcc_lo
	v_cmp_eq_u32_e32 vcc_lo, s19, v10
	s_wait_alu 0xf1ff
	s_delay_alu instid0(VALU_DEP_2)
	v_cndmask_b32_e64 v7, v15, v7, s2
	s_wait_alu 0xfffd
	v_cndmask_b32_e32 v10, v14, v13, vcc_lo
	v_add_co_u32 v13, vcc_lo, v4, 1
	s_wait_alu 0xfffd
	v_add_co_ci_u32_e32 v14, vcc_lo, 0, v9, vcc_lo
	s_delay_alu instid0(VALU_DEP_3) | instskip(SKIP_2) | instid1(VALU_DEP_3)
	v_cmp_ne_u32_e32 vcc_lo, 0, v10
	s_wait_alu 0xfffd
	v_cndmask_b32_e32 v10, v13, v11, vcc_lo
	v_cndmask_b32_e32 v8, v14, v12, vcc_lo
	v_cmp_ne_u32_e32 vcc_lo, 0, v7
	s_wait_alu 0xfffd
	s_delay_alu instid0(VALU_DEP_2)
	v_dual_cndmask_b32 v7, v4, v10 :: v_dual_cndmask_b32 v8, v9, v8
.LBB0_4:                                ;   in Loop: Header=BB0_2 Depth=1
	s_wait_alu 0xfffe
	s_and_not1_saveexec_b32 s2, s20
	s_cbranch_execz .LBB0_6
; %bb.5:                                ;   in Loop: Header=BB0_2 Depth=1
	v_cvt_f32_u32_e32 v4, s18
	s_sub_co_i32 s20, 0, s18
	s_delay_alu instid0(VALU_DEP_1) | instskip(NEXT) | instid1(TRANS32_DEP_1)
	v_rcp_iflag_f32_e32 v4, v4
	v_mul_f32_e32 v4, 0x4f7ffffe, v4
	s_delay_alu instid0(VALU_DEP_1) | instskip(SKIP_1) | instid1(VALU_DEP_1)
	v_cvt_u32_f32_e32 v4, v4
	s_wait_alu 0xfffe
	v_mul_lo_u32 v7, s20, v4
	s_delay_alu instid0(VALU_DEP_1) | instskip(NEXT) | instid1(VALU_DEP_1)
	v_mul_hi_u32 v7, v4, v7
	v_add_nc_u32_e32 v4, v4, v7
	s_delay_alu instid0(VALU_DEP_1) | instskip(NEXT) | instid1(VALU_DEP_1)
	v_mul_hi_u32 v4, v5, v4
	v_mul_lo_u32 v7, v4, s18
	v_add_nc_u32_e32 v8, 1, v4
	s_delay_alu instid0(VALU_DEP_2) | instskip(NEXT) | instid1(VALU_DEP_1)
	v_sub_nc_u32_e32 v7, v5, v7
	v_subrev_nc_u32_e32 v9, s18, v7
	v_cmp_le_u32_e32 vcc_lo, s18, v7
	s_wait_alu 0xfffd
	s_delay_alu instid0(VALU_DEP_2) | instskip(NEXT) | instid1(VALU_DEP_1)
	v_dual_cndmask_b32 v7, v7, v9 :: v_dual_cndmask_b32 v4, v4, v8
	v_cmp_le_u32_e32 vcc_lo, s18, v7
	s_delay_alu instid0(VALU_DEP_2) | instskip(SKIP_1) | instid1(VALU_DEP_1)
	v_add_nc_u32_e32 v8, 1, v4
	s_wait_alu 0xfffd
	v_dual_cndmask_b32 v7, v4, v8 :: v_dual_mov_b32 v8, v3
.LBB0_6:                                ;   in Loop: Header=BB0_2 Depth=1
	s_wait_alu 0xfffe
	s_or_b32 exec_lo, exec_lo, s2
	s_load_b64 s[20:21], s[12:13], 0x0
	s_delay_alu instid0(VALU_DEP_1)
	v_mul_lo_u32 v4, v8, s18
	v_mul_lo_u32 v11, v7, s19
	v_mad_co_u64_u32 v[9:10], null, v7, s18, 0
	s_add_nc_u64 s[14:15], s[14:15], 1
	s_add_nc_u64 s[12:13], s[12:13], 8
	s_wait_alu 0xfffe
	v_cmp_ge_u64_e64 s2, s[14:15], s[6:7]
	s_add_nc_u64 s[16:17], s[16:17], 8
	s_delay_alu instid0(VALU_DEP_2) | instskip(NEXT) | instid1(VALU_DEP_3)
	v_add3_u32 v4, v10, v11, v4
	v_sub_co_u32 v5, vcc_lo, v5, v9
	s_wait_alu 0xfffd
	s_delay_alu instid0(VALU_DEP_2) | instskip(SKIP_3) | instid1(VALU_DEP_2)
	v_sub_co_ci_u32_e32 v4, vcc_lo, v6, v4, vcc_lo
	s_and_b32 vcc_lo, exec_lo, s2
	s_wait_kmcnt 0x0
	v_mul_lo_u32 v6, s21, v5
	v_mul_lo_u32 v4, s20, v4
	v_mad_co_u64_u32 v[1:2], null, s20, v5, v[1:2]
	s_delay_alu instid0(VALU_DEP_1)
	v_add3_u32 v2, v6, v2, v4
	s_wait_alu 0xfffe
	s_cbranch_vccnz .LBB0_9
; %bb.7:                                ;   in Loop: Header=BB0_2 Depth=1
	v_dual_mov_b32 v5, v7 :: v_dual_mov_b32 v6, v8
	s_branch .LBB0_2
.LBB0_8:
	v_dual_mov_b32 v8, v6 :: v_dual_mov_b32 v7, v5
.LBB0_9:
	s_lshl_b64 s[2:3], s[6:7], 3
	v_mul_hi_u32 v3, 0x1381382, v0
	s_wait_alu 0xfffe
	s_add_nc_u64 s[2:3], s[10:11], s[2:3]
	s_load_b64 s[2:3], s[2:3], 0x0
	s_load_b64 s[0:1], s[0:1], 0x20
	s_delay_alu instid0(VALU_DEP_1) | instskip(NEXT) | instid1(VALU_DEP_1)
	v_mul_u32_u24_e32 v3, 0xd2, v3
	v_sub_nc_u32_e32 v12, v0, v3
	s_delay_alu instid0(VALU_DEP_1)
	v_add_nc_u32_e32 v17, 0xd2, v12
	v_add_nc_u32_e32 v16, 0x1a4, v12
	s_wait_kmcnt 0x0
	v_mul_lo_u32 v4, s2, v8
	v_mul_lo_u32 v5, s3, v7
	v_mad_co_u64_u32 v[1:2], null, s2, v7, v[1:2]
	v_cmp_gt_u64_e32 vcc_lo, s[0:1], v[7:8]
	v_cmp_le_u64_e64 s0, s[0:1], v[7:8]
	s_delay_alu instid0(VALU_DEP_3) | instskip(NEXT) | instid1(VALU_DEP_2)
	v_add3_u32 v2, v5, v2, v4
	s_and_saveexec_b32 s1, s0
	s_wait_alu 0xfffe
	s_xor_b32 s0, exec_lo, s1
; %bb.10:
	v_add_nc_u32_e32 v17, 0xd2, v12
	v_add_nc_u32_e32 v16, 0x1a4, v12
; %bb.11:
	s_wait_alu 0xfffe
	s_or_saveexec_b32 s1, s0
	v_lshlrev_b64_e32 v[14:15], 3, v[1:2]
	s_wait_alu 0xfffe
	s_xor_b32 exec_lo, exec_lo, s1
	s_cbranch_execz .LBB0_13
; %bb.12:
	v_mov_b32_e32 v13, 0
	s_delay_alu instid0(VALU_DEP_2) | instskip(SKIP_2) | instid1(VALU_DEP_3)
	v_add_co_u32 v2, s0, s8, v14
	s_wait_alu 0xf1ff
	v_add_co_ci_u32_e64 v3, s0, s9, v15, s0
	v_lshlrev_b64_e32 v[0:1], 3, v[12:13]
	v_lshl_add_u32 v10, v12, 3, 0
	s_delay_alu instid0(VALU_DEP_1) | instskip(NEXT) | instid1(VALU_DEP_3)
	v_add_nc_u32_e32 v11, 0xc00, v10
	v_add_co_u32 v0, s0, v2, v0
	s_wait_alu 0xf1ff
	s_delay_alu instid0(VALU_DEP_4)
	v_add_co_ci_u32_e64 v1, s0, v3, v1, s0
	s_clause 0x4
	global_load_b64 v[2:3], v[0:1], off
	global_load_b64 v[4:5], v[0:1], off offset:1680
	global_load_b64 v[6:7], v[0:1], off offset:3360
	;; [unrolled: 1-line block ×4, first 2 shown]
	s_wait_loadcnt 0x3
	ds_store_2addr_b64 v10, v[2:3], v[4:5] offset1:210
	s_wait_loadcnt 0x1
	ds_store_2addr_b64 v11, v[6:7], v[8:9] offset0:36 offset1:246
	s_wait_loadcnt 0x0
	ds_store_b64 v10, v[0:1] offset:6720
.LBB0_13:
	s_or_b32 exec_lo, exec_lo, s1
	v_lshlrev_b32_e32 v13, 3, v12
	global_wb scope:SCOPE_SE
	s_wait_dscnt 0x0
	s_barrier_signal -1
	s_barrier_wait -1
	global_inv scope:SCOPE_SE
	v_add_nc_u32_e32 v20, 0, v13
	v_lshl_add_u32 v21, v17, 4, 0
	v_cmp_gt_u32_e64 s0, 0x69, v12
	s_delay_alu instid0(VALU_DEP_3)
	v_add_nc_u32_e32 v0, 0xc00, v20
	v_add_nc_u32_e32 v1, 0x1600, v20
	ds_load_2addr_b64 v[4:7], v20 offset1:210
	ds_load_2addr_b64 v[8:11], v0 offset0:36 offset1:141
	ds_load_2addr_b64 v[0:3], v1 offset0:31 offset1:241
	global_wb scope:SCOPE_SE
	s_wait_dscnt 0x0
	s_barrier_signal -1
	s_barrier_wait -1
	global_inv scope:SCOPE_SE
	v_sub_f32_e32 v10, v4, v10
	v_dual_sub_f32 v2, v8, v2 :: v_dual_sub_f32 v11, v5, v11
	v_dual_sub_f32 v3, v9, v3 :: v_dual_add_nc_u32 v22, v20, v13
	v_dual_sub_f32 v0, v6, v0 :: v_dual_sub_f32 v1, v7, v1
	s_delay_alu instid0(VALU_DEP_4) | instskip(NEXT) | instid1(VALU_DEP_4)
	v_fma_f32 v4, v4, 2.0, -v10
	v_fma_f32 v5, v5, 2.0, -v11
	s_delay_alu instid0(VALU_DEP_3) | instskip(NEXT) | instid1(VALU_DEP_4)
	v_fma_f32 v18, v6, 2.0, -v0
	v_fma_f32 v19, v7, 2.0, -v1
	;; [unrolled: 1-line block ×4, first 2 shown]
	ds_store_2addr_b64 v22, v[4:5], v[10:11] offset1:1
	ds_store_2addr_b64 v21, v[18:19], v[0:1] offset1:1
	s_and_saveexec_b32 s1, s0
	s_cbranch_execz .LBB0_15
; %bb.14:
	v_lshl_add_u32 v4, v16, 4, 0
	ds_store_2addr_b64 v4, v[6:7], v[2:3] offset1:1
.LBB0_15:
	s_wait_alu 0xfffe
	s_or_b32 exec_lo, exec_lo, s1
	global_wb scope:SCOPE_SE
	s_wait_dscnt 0x0
	s_barrier_signal -1
	s_barrier_wait -1
	global_inv scope:SCOPE_SE
	ds_load_b64 v[4:5], v20
	ds_load_b64 v[10:11], v20 offset:2800
	ds_load_b64 v[8:9], v20 offset:5600
	v_cmp_gt_u32_e64 s1, 0x8c, v12
	v_lshlrev_b32_e32 v22, 3, v17
	s_delay_alu instid0(VALU_DEP_2)
	s_and_saveexec_b32 s2, s1
	s_cbranch_execz .LBB0_17
; %bb.16:
	s_delay_alu instid0(VALU_DEP_1)
	v_sub_nc_u32_e32 v0, v21, v22
	ds_load_b64 v[6:7], v20 offset:4480
	ds_load_b64 v[0:1], v0
	ds_load_b64 v[2:3], v20 offset:7280
.LBB0_17:
	s_wait_alu 0xfffe
	s_or_b32 exec_lo, exec_lo, s2
	v_and_b32_e32 v18, 1, v12
	s_delay_alu instid0(VALU_DEP_1)
	v_lshlrev_b32_e32 v19, 4, v18
	global_load_b128 v[24:27], v19, s[4:5]
	v_lshrrev_b32_e32 v19, 1, v12
	global_wb scope:SCOPE_SE
	s_wait_loadcnt_dscnt 0x0
	s_barrier_signal -1
	s_barrier_wait -1
	global_inv scope:SCOPE_SE
	v_mul_u32_u24_e32 v19, 6, v19
	v_mul_f32_e32 v32, v27, v8
	v_dual_mul_f32 v30, v25, v10 :: v_dual_mul_f32 v31, v27, v9
	v_mul_f32_e32 v33, v7, v25
	v_mul_f32_e32 v29, v25, v11
	v_or_b32_e32 v19, v19, v18
	s_delay_alu instid0(VALU_DEP_4)
	v_fmac_f32_e32 v30, v24, v11
	v_fma_f32 v11, v26, v8, -v31
	v_fma_f32 v8, v6, v24, -v33
	v_mul_f32_e32 v23, v6, v25
	v_dual_mul_f32 v25, v3, v27 :: v_dual_fmac_f32 v32, v26, v9
	v_lshl_add_u32 v28, v19, 3, 0
	v_fma_f32 v10, v24, v10, -v29
	s_delay_alu instid0(VALU_DEP_3) | instskip(SKIP_2) | instid1(VALU_DEP_4)
	v_fma_f32 v6, v2, v26, -v25
	v_mul_f32_e32 v19, v2, v27
	v_sub_f32_e32 v27, v30, v32
	v_add_f32_e32 v2, v10, v4
	v_add_f32_e32 v9, v30, v5
	v_sub_f32_e32 v29, v10, v11
	v_dual_fmac_f32 v19, v3, v26 :: v_dual_add_f32 v26, v30, v32
	v_dual_add_f32 v30, v8, v6 :: v_dual_fmac_f32 v23, v7, v24
	s_delay_alu instid0(VALU_DEP_4) | instskip(NEXT) | instid1(VALU_DEP_2)
	v_dual_add_f32 v24, v2, v11 :: v_dual_add_f32 v25, v9, v32
	v_fma_f32 v9, -0.5, v30, v0
	s_delay_alu instid0(VALU_DEP_3) | instskip(SKIP_2) | instid1(VALU_DEP_3)
	v_sub_f32_e32 v7, v23, v19
	v_add_f32_e32 v31, v23, v19
	v_fmac_f32_e32 v5, -0.5, v26
	v_dual_fmamk_f32 v2, v7, 0xbf5db3d7, v9 :: v_dual_add_f32 v3, v10, v11
	v_sub_f32_e32 v10, v8, v6
	s_delay_alu instid0(VALU_DEP_4) | instskip(NEXT) | instid1(VALU_DEP_3)
	v_fma_f32 v11, -0.5, v31, v1
	v_fma_f32 v4, -0.5, v3, v4
	s_delay_alu instid0(VALU_DEP_1)
	v_dual_fmamk_f32 v3, v10, 0x3f5db3d7, v11 :: v_dual_fmamk_f32 v26, v27, 0x3f5db3d7, v4
	v_dual_fmac_f32 v4, 0xbf5db3d7, v27 :: v_dual_fmamk_f32 v27, v29, 0xbf5db3d7, v5
	v_fmac_f32_e32 v5, 0x3f5db3d7, v29
	ds_store_2addr_b64 v28, v[24:25], v[26:27] offset1:2
	ds_store_b64 v28, v[4:5] offset:32
	s_and_saveexec_b32 s2, s1
	s_cbranch_execz .LBB0_19
; %bb.18:
	v_lshrrev_b32_e32 v4, 1, v17
	v_dual_mul_f32 v5, 0x3f5db3d7, v10 :: v_dual_add_f32 v10, v1, v23
	v_dual_mul_f32 v7, 0x3f5db3d7, v7 :: v_dual_add_f32 v8, v0, v8
	s_delay_alu instid0(VALU_DEP_3) | instskip(NEXT) | instid1(VALU_DEP_3)
	v_mul_lo_u32 v4, v4, 6
	v_sub_f32_e32 v1, v11, v5
	s_delay_alu instid0(VALU_DEP_3) | instskip(NEXT) | instid1(VALU_DEP_3)
	v_dual_add_f32 v5, v10, v19 :: v_dual_add_f32 v0, v7, v9
	v_or_b32_e32 v18, v4, v18
	v_add_f32_e32 v4, v8, v6
	s_delay_alu instid0(VALU_DEP_2)
	v_lshl_add_u32 v6, v18, 3, 0
	ds_store_2addr_b64 v6, v[4:5], v[0:1] offset1:2
	ds_store_b64 v6, v[2:3] offset:32
.LBB0_19:
	s_wait_alu 0xfffe
	s_or_b32 exec_lo, exec_lo, s2
	v_and_b32_e32 v0, 0xff, v12
	global_wb scope:SCOPE_SE
	s_wait_dscnt 0x0
	s_barrier_signal -1
	s_barrier_wait -1
	global_inv scope:SCOPE_SE
	v_mul_lo_u16 v1, 0xab, v0
	v_mul_lo_u16 v0, 0x89, v0
	v_sub_nc_u32_e32 v30, v21, v22
	v_lshl_add_u32 v23, v16, 3, 0
	v_cmp_gt_u32_e64 s1, 0x96, v12
	v_lshrrev_b16 v28, 10, v1
	v_lshrrev_b16 v32, 12, v0
	s_delay_alu instid0(VALU_DEP_2) | instskip(NEXT) | instid1(VALU_DEP_2)
	v_mul_lo_u16 v1, v28, 6
	v_mul_lo_u16 v33, v32, 30
	s_delay_alu instid0(VALU_DEP_2) | instskip(NEXT) | instid1(VALU_DEP_2)
	v_sub_nc_u16 v1, v12, v1
	v_sub_nc_u16 v33, v12, v33
	s_delay_alu instid0(VALU_DEP_2) | instskip(NEXT) | instid1(VALU_DEP_1)
	v_and_b32_e32 v29, 0xff, v1
	v_lshlrev_b32_e32 v1, 5, v29
	v_lshlrev_b32_e32 v35, 3, v29
	s_clause 0x1
	global_load_b128 v[4:7], v1, s[4:5] offset:32
	global_load_b128 v[8:11], v1, s[4:5] offset:48
	v_add_nc_u32_e32 v31, 0x1300, v20
	ds_load_b64 v[0:1], v30
	ds_load_b64 v[18:19], v23
	ds_load_2addr_b64 v[24:27], v31 offset0:22 offset1:232
	s_wait_loadcnt_dscnt 0x101
	v_dual_mul_f32 v37, v7, v19 :: v_dual_and_b32 v28, 0xffff, v28
	s_delay_alu instid0(VALU_DEP_1)
	v_mul_u32_u24_e32 v34, 0xf0, v28
	s_wait_loadcnt_dscnt 0x0
	v_mul_f32_e32 v38, v9, v25
	ds_load_2addr_b32 v[28:29], v20 offset1:1
	global_wb scope:SCOPE_SE
	s_wait_dscnt 0x0
	s_barrier_signal -1
	v_add3_u32 v34, 0, v34, v35
	v_mul_f32_e32 v35, v5, v1
	v_mul_f32_e32 v5, v5, v0
	s_barrier_wait -1
	global_inv scope:SCOPE_SE
	v_mul_f32_e32 v7, v7, v18
	v_fma_f32 v0, v4, v0, -v35
	v_fmac_f32_e32 v5, v4, v1
	v_fma_f32 v1, v6, v18, -v37
	v_mul_f32_e32 v9, v9, v24
	v_fma_f32 v4, v8, v24, -v38
	v_mul_f32_e32 v39, v11, v27
	v_and_b32_e32 v33, 0xff, v33
	v_sub_f32_e32 v24, v0, v1
	s_delay_alu instid0(VALU_DEP_4) | instskip(NEXT) | instid1(VALU_DEP_4)
	v_dual_fmac_f32 v9, v8, v25 :: v_dual_sub_f32 v40, v1, v4
	v_fma_f32 v8, v10, v26, -v39
	s_delay_alu instid0(VALU_DEP_1) | instskip(SKIP_2) | instid1(VALU_DEP_2)
	v_sub_f32_e32 v25, v8, v4
	v_dual_mul_f32 v11, v11, v26 :: v_dual_add_f32 v26, v0, v8
	v_sub_f32_e32 v39, v0, v8
	v_dual_fmac_f32 v11, v10, v27 :: v_dual_add_f32 v10, v1, v4
	v_dual_fmac_f32 v7, v6, v19 :: v_dual_lshlrev_b32 v36, 5, v33
	v_add_f32_e32 v6, v0, v28
	v_sub_f32_e32 v27, v1, v0
	s_delay_alu instid0(VALU_DEP_4) | instskip(SKIP_1) | instid1(VALU_DEP_4)
	v_fma_f32 v0, -0.5, v10, v28
	v_fma_f32 v28, -0.5, v26, v28
	v_dual_sub_f32 v35, v4, v8 :: v_dual_add_f32 v6, v6, v1
	v_add_f32_e32 v10, v24, v25
	s_delay_alu instid0(VALU_DEP_2)
	v_add_f32_e32 v24, v27, v35
	v_sub_f32_e32 v42, v11, v9
	v_add_f32_e32 v38, v7, v9
	v_sub_f32_e32 v44, v9, v11
	v_sub_f32_e32 v18, v5, v11
	v_add_f32_e32 v37, v29, v5
	v_add_f32_e32 v43, v5, v11
	;; [unrolled: 1-line block ×3, first 2 shown]
	s_delay_alu instid0(VALU_DEP_4) | instskip(SKIP_3) | instid1(VALU_DEP_3)
	v_dual_sub_f32 v41, v5, v7 :: v_dual_fmamk_f32 v4, v18, 0x3f737871, v0
	v_dual_fmac_f32 v0, 0xbf737871, v18 :: v_dual_sub_f32 v5, v7, v5
	v_sub_f32_e32 v19, v7, v9
	v_fma_f32 v1, -0.5, v38, v29
	v_add_f32_e32 v26, v5, v44
	s_delay_alu instid0(VALU_DEP_3)
	v_fmamk_f32 v6, v19, 0xbf737871, v28
	v_fmac_f32_e32 v28, 0x3f737871, v19
	v_add_f32_e32 v7, v37, v7
	v_fmac_f32_e32 v4, 0x3f167918, v19
	v_fmamk_f32 v5, v39, 0xbf737871, v1
	v_dual_fmac_f32 v6, 0x3f167918, v18 :: v_dual_fmac_f32 v29, -0.5, v43
	v_fmac_f32_e32 v0, 0xbf167918, v19
	s_delay_alu instid0(VALU_DEP_4) | instskip(SKIP_1) | instid1(VALU_DEP_4)
	v_fmac_f32_e32 v4, 0x3e9e377a, v10
	v_dual_fmac_f32 v28, 0xbf167918, v18 :: v_dual_add_f32 v9, v7, v9
	v_fmamk_f32 v7, v40, 0x3f737871, v29
	v_fmac_f32_e32 v29, 0xbf737871, v40
	v_fmac_f32_e32 v1, 0x3f737871, v39
	;; [unrolled: 1-line block ×4, first 2 shown]
	v_dual_add_f32 v8, v27, v8 :: v_dual_add_f32 v25, v41, v42
	v_fmac_f32_e32 v6, 0x3e9e377a, v24
	v_fmac_f32_e32 v7, 0xbf167918, v39
	;; [unrolled: 1-line block ×4, first 2 shown]
	v_dual_fmac_f32 v28, 0x3e9e377a, v24 :: v_dual_add_f32 v9, v9, v11
	v_fmac_f32_e32 v5, 0x3e9e377a, v25
	v_fmac_f32_e32 v7, 0x3e9e377a, v26
	v_fmac_f32_e32 v29, 0x3e9e377a, v26
	v_fmac_f32_e32 v1, 0x3e9e377a, v25
	ds_store_2addr_b64 v34, v[8:9], v[4:5] offset1:6
	ds_store_2addr_b64 v34, v[6:7], v[28:29] offset0:12 offset1:18
	ds_store_b64 v34, v[0:1] offset:192
	global_wb scope:SCOPE_SE
	s_wait_dscnt 0x0
	s_barrier_signal -1
	s_barrier_wait -1
	global_inv scope:SCOPE_SE
	s_clause 0x1
	global_load_b128 v[8:11], v36, s[4:5] offset:224
	global_load_b128 v[24:27], v36, s[4:5] offset:240
	ds_load_b64 v[0:1], v30
	ds_load_b64 v[4:5], v23
	ds_load_2addr_b64 v[28:31], v31 offset0:22 offset1:232
	v_and_b32_e32 v6, 0xffff, v32
	v_lshlrev_b32_e32 v19, 3, v33
	s_delay_alu instid0(VALU_DEP_2)
	v_mul_u32_u24_e32 v18, 0x4b0, v6
	ds_load_2addr_b32 v[6:7], v20 offset1:1
	global_wb scope:SCOPE_SE
	s_wait_loadcnt_dscnt 0x0
	s_barrier_signal -1
	s_barrier_wait -1
	v_add3_u32 v18, 0, v18, v19
	global_inv scope:SCOPE_SE
	v_mul_f32_e32 v19, v9, v1
	v_dual_mul_f32 v9, v9, v0 :: v_dual_mul_f32 v34, v27, v31
	v_mul_f32_e32 v27, v27, v30
	v_mul_f32_e32 v32, v11, v5
	s_delay_alu instid0(VALU_DEP_4) | instskip(NEXT) | instid1(VALU_DEP_4)
	v_fma_f32 v0, v8, v0, -v19
	v_fmac_f32_e32 v9, v8, v1
	v_fma_f32 v8, v26, v30, -v34
	v_fmac_f32_e32 v27, v26, v31
	v_fma_f32 v1, v10, v4, -v32
	s_delay_alu instid0(VALU_DEP_2) | instskip(SKIP_1) | instid1(VALU_DEP_3)
	v_dual_sub_f32 v34, v0, v8 :: v_dual_sub_f32 v19, v9, v27
	v_mul_f32_e32 v33, v25, v29
	v_dual_mul_f32 v25, v25, v28 :: v_dual_sub_f32 v26, v0, v1
	s_delay_alu instid0(VALU_DEP_1) | instskip(NEXT) | instid1(VALU_DEP_1)
	v_dual_sub_f32 v30, v1, v0 :: v_dual_fmac_f32 v25, v24, v29
	v_sub_f32_e32 v39, v25, v27
	v_mul_f32_e32 v11, v11, v4
	v_fma_f32 v4, v24, v28, -v33
	s_delay_alu instid0(VALU_DEP_1) | instskip(SKIP_2) | instid1(VALU_DEP_3)
	v_dual_fmac_f32 v11, v10, v5 :: v_dual_add_f32 v10, v1, v4
	v_sub_f32_e32 v28, v8, v4
	v_sub_f32_e32 v31, v4, v8
	v_dual_sub_f32 v35, v1, v4 :: v_dual_sub_f32 v24, v11, v25
	s_delay_alu instid0(VALU_DEP_3) | instskip(NEXT) | instid1(VALU_DEP_3)
	v_add_f32_e32 v26, v26, v28
	v_dual_add_f32 v29, v0, v8 :: v_dual_add_f32 v28, v30, v31
	v_add_f32_e32 v5, v0, v6
	v_fma_f32 v0, -0.5, v10, v6
	s_delay_alu instid0(VALU_DEP_1) | instskip(NEXT) | instid1(VALU_DEP_1)
	v_dual_add_f32 v5, v5, v1 :: v_dual_fmamk_f32 v10, v19, 0x3f737871, v0
	v_fmac_f32_e32 v10, 0x3f167918, v24
	v_add_f32_e32 v32, v7, v9
	v_sub_f32_e32 v36, v9, v11
	s_delay_alu instid0(VALU_DEP_3) | instskip(SKIP_1) | instid1(VALU_DEP_1)
	v_fmac_f32_e32 v10, 0x3e9e377a, v26
	v_fmac_f32_e32 v0, 0xbf737871, v19
	;; [unrolled: 1-line block ×3, first 2 shown]
	v_dual_add_f32 v38, v9, v27 :: v_dual_sub_f32 v9, v11, v9
	s_delay_alu instid0(VALU_DEP_2) | instskip(SKIP_1) | instid1(VALU_DEP_3)
	v_fmac_f32_e32 v0, 0x3e9e377a, v26
	v_fma_f32 v6, -0.5, v29, v6
	v_add_f32_e32 v30, v9, v39
	s_delay_alu instid0(VALU_DEP_2) | instskip(SKIP_1) | instid1(VALU_DEP_2)
	v_dual_add_f32 v9, v5, v4 :: v_dual_fmamk_f32 v4, v24, 0xbf737871, v6
	v_fmac_f32_e32 v6, 0x3f737871, v24
	v_add_f32_e32 v8, v9, v8
	s_delay_alu instid0(VALU_DEP_3) | instskip(NEXT) | instid1(VALU_DEP_3)
	v_fmac_f32_e32 v4, 0x3f167918, v19
	v_dual_fmac_f32 v6, 0xbf167918, v19 :: v_dual_add_f32 v33, v11, v25
	v_add_f32_e32 v11, v32, v11
	s_delay_alu instid0(VALU_DEP_3) | instskip(NEXT) | instid1(VALU_DEP_3)
	v_dual_sub_f32 v37, v27, v25 :: v_dual_fmac_f32 v4, 0x3e9e377a, v28
	v_fmac_f32_e32 v6, 0x3e9e377a, v28
	s_delay_alu instid0(VALU_DEP_4) | instskip(SKIP_3) | instid1(VALU_DEP_4)
	v_fma_f32 v1, -0.5, v33, v7
	v_fmac_f32_e32 v7, -0.5, v38
	v_add_f32_e32 v25, v11, v25
	v_add_f32_e32 v29, v36, v37
                                        ; implicit-def: $vgpr19
	v_fmamk_f32 v11, v34, 0xbf737871, v1
	v_fmac_f32_e32 v1, 0x3f737871, v34
	v_fmamk_f32 v5, v35, 0x3f737871, v7
	v_fmac_f32_e32 v7, 0xbf737871, v35
	v_add_f32_e32 v9, v25, v27
	v_fmac_f32_e32 v11, 0xbf167918, v35
	v_fmac_f32_e32 v1, 0x3f167918, v35
	;; [unrolled: 1-line block ×4, first 2 shown]
	s_delay_alu instid0(VALU_DEP_4) | instskip(NEXT) | instid1(VALU_DEP_4)
	v_fmac_f32_e32 v11, 0x3e9e377a, v29
	v_fmac_f32_e32 v1, 0x3e9e377a, v29
	s_delay_alu instid0(VALU_DEP_4) | instskip(NEXT) | instid1(VALU_DEP_4)
	v_fmac_f32_e32 v5, 0x3e9e377a, v30
	v_fmac_f32_e32 v7, 0x3e9e377a, v30
	ds_store_2addr_b64 v18, v[8:9], v[10:11] offset1:30
	ds_store_2addr_b64 v18, v[4:5], v[6:7] offset0:60 offset1:90
	ds_store_b64 v18, v[0:1] offset:960
	global_wb scope:SCOPE_SE
	s_wait_dscnt 0x0
	s_barrier_signal -1
	s_barrier_wait -1
	global_inv scope:SCOPE_SE
	s_and_saveexec_b32 s2, s1
	s_cbranch_execz .LBB0_21
; %bb.20:
	v_add_nc_u32_e32 v0, 0x800, v20
	v_add_nc_u32_e32 v1, 0x1000, v20
	ds_load_2addr_b64 v[8:11], v20 offset1:150
	ds_load_2addr_b64 v[4:7], v0 offset0:44 offset1:194
	ds_load_2addr_b64 v[0:3], v1 offset0:88 offset1:238
	ds_load_b64 v[18:19], v20 offset:7200
.LBB0_21:
	s_wait_alu 0xfffe
	s_or_b32 exec_lo, exec_lo, s2
	global_wb scope:SCOPE_SE
	s_wait_dscnt 0x0
	s_barrier_signal -1
	s_barrier_wait -1
	global_inv scope:SCOPE_SE
	s_and_saveexec_b32 s2, s1
	s_cbranch_execz .LBB0_23
; %bb.22:
	v_dual_mov_b32 v25, 0 :: v_dual_add_nc_u32 v24, 0xffffff6a, v12
	s_delay_alu instid0(VALU_DEP_1) | instskip(NEXT) | instid1(VALU_DEP_1)
	v_cndmask_b32_e64 v24, v24, v12, s1
	v_mul_i32_i24_e32 v24, 6, v24
	s_delay_alu instid0(VALU_DEP_1) | instskip(NEXT) | instid1(VALU_DEP_1)
	v_lshlrev_b64_e32 v[24:25], 3, v[24:25]
	v_add_co_u32 v32, s1, s4, v24
	s_wait_alu 0xf1ff
	s_delay_alu instid0(VALU_DEP_2)
	v_add_co_ci_u32_e64 v33, s1, s5, v25, s1
	s_clause 0x2
	global_load_b128 v[24:27], v[32:33], off offset:1184
	global_load_b128 v[28:31], v[32:33], off offset:1216
	;; [unrolled: 1-line block ×3, first 2 shown]
	v_add_nc_u32_e32 v36, 0x800, v20
	s_wait_loadcnt 0x2
	v_dual_mul_f32 v38, v11, v25 :: v_dual_add_nc_u32 v37, 0x1000, v20
	s_wait_loadcnt 0x1
	v_dual_mul_f32 v42, v5, v27 :: v_dual_mul_f32 v43, v3, v29
	v_mul_f32_e32 v39, v19, v31
	s_wait_loadcnt 0x0
	v_dual_mul_f32 v40, v1, v35 :: v_dual_mul_f32 v41, v7, v33
	v_mul_f32_e32 v29, v2, v29
	v_mul_f32_e32 v27, v4, v27
	v_fma_f32 v4, v4, v26, -v42
	v_fma_f32 v2, v2, v28, -v43
	v_mul_f32_e32 v31, v18, v31
	v_fma_f32 v18, v18, v30, -v39
	v_mul_f32_e32 v35, v0, v35
	v_fma_f32 v0, v0, v34, -v40
	v_fmac_f32_e32 v27, v5, v26
	v_sub_f32_e32 v5, v4, v2
	v_add_f32_e32 v2, v4, v2
	v_fmac_f32_e32 v31, v19, v30
	v_mul_f32_e32 v33, v6, v33
	v_fma_f32 v6, v6, v32, -v41
	v_fmac_f32_e32 v29, v3, v28
	v_fmac_f32_e32 v35, v1, v34
	s_delay_alu instid0(VALU_DEP_3) | instskip(SKIP_3) | instid1(VALU_DEP_2)
	v_sub_f32_e32 v3, v0, v6
	v_mul_f32_e32 v25, v10, v25
	v_add_f32_e32 v0, v6, v0
	v_fma_f32 v10, v10, v24, -v38
	v_dual_fmac_f32 v25, v11, v24 :: v_dual_sub_f32 v30, v0, v2
	s_delay_alu instid0(VALU_DEP_1) | instskip(SKIP_1) | instid1(VALU_DEP_4)
	v_dual_sub_f32 v4, v25, v31 :: v_dual_fmac_f32 v33, v7, v32
	v_add_f32_e32 v7, v25, v31
	v_sub_f32_e32 v1, v10, v18
	v_add_f32_e32 v10, v10, v18
	v_sub_f32_e32 v18, v27, v29
	s_delay_alu instid0(VALU_DEP_2) | instskip(SKIP_1) | instid1(VALU_DEP_2)
	v_dual_sub_f32 v6, v35, v33 :: v_dual_add_f32 v31, v2, v10
	v_sub_f32_e32 v2, v2, v10
	v_dual_sub_f32 v32, v4, v6 :: v_dual_add_f32 v11, v33, v35
	s_delay_alu instid0(VALU_DEP_4) | instskip(SKIP_1) | instid1(VALU_DEP_3)
	v_sub_f32_e32 v33, v6, v18
	v_dual_add_f32 v6, v6, v18 :: v_dual_add_f32 v19, v27, v29
	v_dual_sub_f32 v29, v10, v0 :: v_dual_sub_f32 v26, v7, v11
	v_sub_f32_e32 v10, v18, v4
	s_delay_alu instid0(VALU_DEP_3)
	v_dual_add_f32 v4, v6, v4 :: v_dual_sub_f32 v27, v11, v19
	v_add_f32_e32 v28, v19, v7
	v_sub_f32_e32 v7, v19, v7
	v_dual_mul_f32 v19, 0x3f4a47b2, v26 :: v_dual_mul_f32 v26, 0x3f4a47b2, v29
	v_sub_f32_e32 v25, v3, v5
	v_add_f32_e32 v29, v0, v31
	v_mul_f32_e32 v31, 0xbf08b237, v33
	v_mul_f32_e32 v33, 0x3f5ff5aa, v10
	s_delay_alu instid0(VALU_DEP_4) | instskip(SKIP_3) | instid1(VALU_DEP_3)
	v_mul_f32_e32 v18, 0xbf08b237, v25
	v_dual_sub_f32 v24, v1, v3 :: v_dual_add_f32 v3, v3, v5
	v_sub_f32_e32 v5, v5, v1
	v_add_f32_e32 v0, v8, v29
	v_dual_fmamk_f32 v34, v24, 0x3eae86e6, v18 :: v_dual_add_f32 v3, v3, v1
	v_dual_add_f32 v11, v11, v28 :: v_dual_mul_f32 v28, 0x3d64c772, v30
	s_delay_alu instid0(VALU_DEP_1) | instskip(SKIP_2) | instid1(VALU_DEP_1)
	v_add_f32_e32 v1, v9, v11
	v_fmamk_f32 v9, v30, 0x3d64c772, v26
	v_fmamk_f32 v30, v32, 0x3eae86e6, v31
	v_fmac_f32_e32 v30, 0x3ee1c552, v4
	v_mul_f32_e32 v6, 0x3f5ff5aa, v5
	v_mul_f32_e32 v25, 0x3d64c772, v27
	v_fma_f32 v18, 0x3f5ff5aa, v5, -v18
	s_delay_alu instid0(VALU_DEP_3) | instskip(SKIP_1) | instid1(VALU_DEP_1)
	v_fma_f32 v6, 0xbeae86e6, v24, -v6
	v_fma_f32 v24, 0xbeae86e6, v32, -v33
	v_fmac_f32_e32 v24, 0x3ee1c552, v4
	v_fmamk_f32 v27, v27, 0x3d64c772, v19
	v_fma_f32 v8, 0xbf3bfb3b, v7, -v19
	v_fma_f32 v19, 0xbf3bfb3b, v2, -v26
	;; [unrolled: 1-line block ×5, first 2 shown]
	v_fmamk_f32 v10, v29, 0xbf955555, v0
	s_delay_alu instid0(VALU_DEP_1) | instskip(SKIP_4) | instid1(VALU_DEP_3)
	v_dual_fmac_f32 v25, 0x3ee1c552, v4 :: v_dual_add_f32 v2, v2, v10
	v_fmac_f32_e32 v6, 0x3ee1c552, v3
	v_fmamk_f32 v5, v11, 0xbf955555, v1
	v_fmac_f32_e32 v18, 0x3ee1c552, v3
	v_fmac_f32_e32 v34, 0x3ee1c552, v3
	v_dual_add_f32 v28, v19, v10 :: v_dual_add_f32 v11, v8, v5
	v_add_f32_e32 v26, v27, v5
	v_add_f32_e32 v8, v7, v5
	s_delay_alu instid0(VALU_DEP_3)
	v_dual_sub_f32 v4, v28, v24 :: v_dual_add_f32 v5, v6, v11
	v_sub_f32_e32 v11, v11, v6
	v_add_f32_e32 v6, v25, v2
	v_add_f32_e32 v27, v9, v10
	v_sub_f32_e32 v7, v8, v18
	v_add_f32_e32 v9, v18, v8
	v_sub_f32_e32 v19, v26, v34
	v_sub_f32_e32 v8, v2, v25
	v_add_f32_e32 v18, v30, v27
	v_dual_add_f32 v10, v24, v28 :: v_dual_add_f32 v3, v34, v26
	v_sub_f32_e32 v2, v27, v30
	ds_store_2addr_b64 v20, v[0:1], v[18:19] offset1:150
	ds_store_2addr_b64 v36, v[10:11], v[8:9] offset0:44 offset1:194
	ds_store_2addr_b64 v37, v[6:7], v[4:5] offset0:88 offset1:238
	ds_store_b64 v20, v[2:3] offset:7200
.LBB0_23:
	s_wait_alu 0xfffe
	s_or_b32 exec_lo, exec_lo, s2
	global_wb scope:SCOPE_SE
	s_wait_dscnt 0x0
	s_barrier_signal -1
	s_barrier_wait -1
	global_inv scope:SCOPE_SE
	ds_load_b64 v[0:1], v20
	v_sub_nc_u32_e32 v2, 0, v13
	s_mov_b32 s2, exec_lo
                                        ; implicit-def: $vgpr4
                                        ; implicit-def: $vgpr3
	v_cmpx_ne_u32_e32 0, v12
	s_wait_alu 0xfffe
	s_xor_b32 s2, exec_lo, s2
	s_cbranch_execz .LBB0_25
; %bb.24:
	ds_load_b64 v[6:7], v2 offset:8400
	s_wait_dscnt 0x0
	v_dual_mov_b32 v13, 0 :: v_dual_add_f32 v8, v7, v1
	s_delay_alu instid0(VALU_DEP_1) | instskip(NEXT) | instid1(VALU_DEP_2)
	v_lshlrev_b64_e32 v[3:4], 3, v[12:13]
	v_dual_sub_f32 v1, v1, v7 :: v_dual_mul_f32 v8, 0.5, v8
	s_delay_alu instid0(VALU_DEP_2) | instskip(SKIP_1) | instid1(VALU_DEP_3)
	v_add_co_u32 v3, s1, s4, v3
	s_wait_alu 0xf1ff
	v_add_co_ci_u32_e64 v4, s1, s5, v4, s1
	global_load_b64 v[4:5], v[3:4], off offset:8384
	v_dual_sub_f32 v3, v0, v6 :: v_dual_add_f32 v0, v6, v0
	s_delay_alu instid0(VALU_DEP_1) | instskip(SKIP_1) | instid1(VALU_DEP_1)
	v_mul_f32_e32 v7, 0.5, v3
	s_wait_loadcnt 0x0
	v_dual_mul_f32 v1, 0.5, v1 :: v_dual_mul_f32 v6, v5, v7
	s_delay_alu instid0(VALU_DEP_1) | instskip(SKIP_1) | instid1(VALU_DEP_3)
	v_fma_f32 v9, v8, v5, v1
	v_fma_f32 v1, v8, v5, -v1
	v_fma_f32 v3, 0.5, v0, v6
	v_fma_f32 v0, v0, 0.5, -v6
	s_delay_alu instid0(VALU_DEP_4) | instskip(NEXT) | instid1(VALU_DEP_4)
	v_fma_f32 v5, -v4, v7, v9
	v_fma_f32 v1, -v4, v7, v1
	ds_store_b32 v20, v5 offset:4
	ds_store_b32 v2, v1 offset:8404
	v_fmac_f32_e32 v3, v4, v8
	v_fma_f32 v4, -v4, v8, v0
                                        ; implicit-def: $vgpr0_vgpr1
.LBB0_25:
	s_wait_alu 0xfffe
	s_or_saveexec_b32 s1, s2
	v_sub_nc_u32_e32 v5, 0, v22
	s_wait_alu 0xfffe
	s_xor_b32 exec_lo, exec_lo, s1
	s_cbranch_execz .LBB0_27
; %bb.26:
	s_wait_dscnt 0x0
	v_dual_mov_b32 v6, 0 :: v_dual_add_f32 v3, v0, v1
	ds_store_b32 v20, v6 offset:4
	ds_store_b32 v2, v6 offset:8404
	ds_load_b32 v4, v6 offset:4204
	s_wait_dscnt 0x0
	v_xor_b32_e32 v7, 0x80000000, v4
	v_sub_f32_e32 v4, v0, v1
	ds_store_b32 v6, v7 offset:4204
.LBB0_27:
	s_or_b32 exec_lo, exec_lo, s1
	v_dual_mov_b32 v18, 0 :: v_dual_add_nc_u32 v7, v21, v5
	s_wait_dscnt 0x0
	s_delay_alu instid0(VALU_DEP_1) | instskip(NEXT) | instid1(VALU_DEP_1)
	v_lshlrev_b64_e32 v[0:1], 3, v[17:18]
	v_add_co_u32 v0, s1, s4, v0
	s_wait_alu 0xf1ff
	s_delay_alu instid0(VALU_DEP_2)
	v_add_co_ci_u32_e64 v1, s1, s5, v1, s1
	global_load_b64 v[0:1], v[0:1], off offset:8384
	ds_store_b32 v20, v3
	ds_store_b32 v2, v4 offset:8400
	ds_load_b64 v[3:4], v7
	ds_load_b64 v[5:6], v2 offset:6720
	s_wait_dscnt 0x0
	v_dual_sub_f32 v8, v3, v5 :: v_dual_add_f32 v9, v4, v6
	v_dual_sub_f32 v4, v4, v6 :: v_dual_add_f32 v5, v3, v5
	s_delay_alu instid0(VALU_DEP_2) | instskip(NEXT) | instid1(VALU_DEP_3)
	v_mul_f32_e32 v6, 0.5, v8
	v_mul_f32_e32 v8, 0.5, v9
	s_wait_loadcnt 0x0
	s_delay_alu instid0(VALU_DEP_2) | instskip(NEXT) | instid1(VALU_DEP_1)
	v_dual_mul_f32 v4, 0.5, v4 :: v_dual_mul_f32 v9, v1, v6
	v_fma_f32 v10, v8, v1, v4
	v_fma_f32 v1, v8, v1, -v4
	s_delay_alu instid0(VALU_DEP_3) | instskip(SKIP_1) | instid1(VALU_DEP_4)
	v_fma_f32 v3, 0.5, v5, v9
	v_fma_f32 v5, v5, 0.5, -v9
	v_fma_f32 v4, -v0, v6, v10
	s_delay_alu instid0(VALU_DEP_4) | instskip(NEXT) | instid1(VALU_DEP_4)
	v_fma_f32 v1, -v0, v6, v1
	v_fmac_f32_e32 v3, v0, v8
	s_delay_alu instid0(VALU_DEP_4)
	v_fma_f32 v0, -v0, v8, v5
	ds_store_b64 v7, v[3:4]
	ds_store_b64 v2, v[0:1] offset:6720
	s_and_saveexec_b32 s1, s0
	s_cbranch_execz .LBB0_29
; %bb.28:
	v_mov_b32_e32 v17, v18
	s_delay_alu instid0(VALU_DEP_1) | instskip(NEXT) | instid1(VALU_DEP_1)
	v_lshlrev_b64_e32 v[0:1], 3, v[16:17]
	v_add_co_u32 v0, s0, s4, v0
	s_wait_alu 0xf1ff
	s_delay_alu instid0(VALU_DEP_2)
	v_add_co_ci_u32_e64 v1, s0, s5, v1, s0
	global_load_b64 v[0:1], v[0:1], off offset:8384
	ds_load_b64 v[3:4], v23
	ds_load_b64 v[5:6], v2 offset:5040
	s_wait_dscnt 0x0
	v_dual_add_f32 v8, v4, v6 :: v_dual_sub_f32 v7, v3, v5
	v_dual_sub_f32 v4, v4, v6 :: v_dual_add_f32 v5, v3, v5
	s_delay_alu instid0(VALU_DEP_2) | instskip(NEXT) | instid1(VALU_DEP_2)
	v_dual_mul_f32 v6, 0.5, v7 :: v_dual_mul_f32 v7, 0.5, v8
	v_mul_f32_e32 v4, 0.5, v4
	s_wait_loadcnt 0x0
	s_delay_alu instid0(VALU_DEP_2) | instskip(NEXT) | instid1(VALU_DEP_2)
	v_mul_f32_e32 v8, v1, v6
	v_fma_f32 v9, v7, v1, v4
	v_fma_f32 v1, v7, v1, -v4
	s_delay_alu instid0(VALU_DEP_3) | instskip(NEXT) | instid1(VALU_DEP_3)
	v_fma_f32 v3, 0.5, v5, v8
	v_fma_f32 v4, -v0, v6, v9
	s_delay_alu instid0(VALU_DEP_3) | instskip(NEXT) | instid1(VALU_DEP_3)
	v_fma_f32 v1, -v0, v6, v1
	v_fmac_f32_e32 v3, v0, v7
	v_fma_f32 v5, v5, 0.5, -v8
	s_delay_alu instid0(VALU_DEP_1)
	v_fma_f32 v0, -v0, v7, v5
	ds_store_b64 v23, v[3:4]
	ds_store_b64 v2, v[0:1] offset:5040
.LBB0_29:
	s_wait_alu 0xfffe
	s_or_b32 exec_lo, exec_lo, s1
	global_wb scope:SCOPE_SE
	s_wait_dscnt 0x0
	s_barrier_signal -1
	s_barrier_wait -1
	global_inv scope:SCOPE_SE
	s_and_saveexec_b32 s0, vcc_lo
	s_cbranch_execz .LBB0_32
; %bb.30:
	v_dual_mov_b32 v13, 0 :: v_dual_add_nc_u32 v0, 0xc00, v20
	ds_load_2addr_b64 v[2:5], v20 offset1:210
	ds_load_2addr_b64 v[6:9], v0 offset0:36 offset1:246
	ds_load_b64 v[10:11], v20 offset:6720
	v_lshlrev_b64_e32 v[16:17], 3, v[12:13]
	v_add_co_u32 v0, vcc_lo, s8, v14
	s_wait_alu 0xfffd
	v_add_co_ci_u32_e32 v1, vcc_lo, s9, v15, vcc_lo
	s_delay_alu instid0(VALU_DEP_2) | instskip(SKIP_1) | instid1(VALU_DEP_2)
	v_add_co_u32 v14, vcc_lo, v0, v16
	s_wait_alu 0xfffd
	v_add_co_ci_u32_e32 v15, vcc_lo, v1, v17, vcc_lo
	v_cmp_eq_u32_e32 vcc_lo, 0xd1, v12
	s_wait_dscnt 0x2
	s_clause 0x1
	global_store_b64 v[14:15], v[2:3], off
	global_store_b64 v[14:15], v[4:5], off offset:1680
	s_wait_dscnt 0x1
	s_clause 0x1
	global_store_b64 v[14:15], v[6:7], off offset:3360
	global_store_b64 v[14:15], v[8:9], off offset:5040
	s_wait_dscnt 0x0
	global_store_b64 v[14:15], v[10:11], off offset:6720
	s_and_b32 exec_lo, exec_lo, vcc_lo
	s_cbranch_execz .LBB0_32
; %bb.31:
	ds_load_b64 v[2:3], v13 offset:8400
	s_wait_dscnt 0x0
	global_store_b64 v[0:1], v[2:3], off offset:8400
.LBB0_32:
	s_nop 0
	s_sendmsg sendmsg(MSG_DEALLOC_VGPRS)
	s_endpgm
	.section	.rodata,"a",@progbits
	.p2align	6, 0x0
	.amdhsa_kernel fft_rtc_fwd_len1050_factors_2_3_5_5_7_wgs_210_tpt_210_sp_ip_CI_unitstride_sbrr_R2C_dirReg
		.amdhsa_group_segment_fixed_size 0
		.amdhsa_private_segment_fixed_size 0
		.amdhsa_kernarg_size 88
		.amdhsa_user_sgpr_count 2
		.amdhsa_user_sgpr_dispatch_ptr 0
		.amdhsa_user_sgpr_queue_ptr 0
		.amdhsa_user_sgpr_kernarg_segment_ptr 1
		.amdhsa_user_sgpr_dispatch_id 0
		.amdhsa_user_sgpr_private_segment_size 0
		.amdhsa_wavefront_size32 1
		.amdhsa_uses_dynamic_stack 0
		.amdhsa_enable_private_segment 0
		.amdhsa_system_sgpr_workgroup_id_x 1
		.amdhsa_system_sgpr_workgroup_id_y 0
		.amdhsa_system_sgpr_workgroup_id_z 0
		.amdhsa_system_sgpr_workgroup_info 0
		.amdhsa_system_vgpr_workitem_id 0
		.amdhsa_next_free_vgpr 45
		.amdhsa_next_free_sgpr 32
		.amdhsa_reserve_vcc 1
		.amdhsa_float_round_mode_32 0
		.amdhsa_float_round_mode_16_64 0
		.amdhsa_float_denorm_mode_32 3
		.amdhsa_float_denorm_mode_16_64 3
		.amdhsa_fp16_overflow 0
		.amdhsa_workgroup_processor_mode 1
		.amdhsa_memory_ordered 1
		.amdhsa_forward_progress 0
		.amdhsa_round_robin_scheduling 0
		.amdhsa_exception_fp_ieee_invalid_op 0
		.amdhsa_exception_fp_denorm_src 0
		.amdhsa_exception_fp_ieee_div_zero 0
		.amdhsa_exception_fp_ieee_overflow 0
		.amdhsa_exception_fp_ieee_underflow 0
		.amdhsa_exception_fp_ieee_inexact 0
		.amdhsa_exception_int_div_zero 0
	.end_amdhsa_kernel
	.text
.Lfunc_end0:
	.size	fft_rtc_fwd_len1050_factors_2_3_5_5_7_wgs_210_tpt_210_sp_ip_CI_unitstride_sbrr_R2C_dirReg, .Lfunc_end0-fft_rtc_fwd_len1050_factors_2_3_5_5_7_wgs_210_tpt_210_sp_ip_CI_unitstride_sbrr_R2C_dirReg
                                        ; -- End function
	.section	.AMDGPU.csdata,"",@progbits
; Kernel info:
; codeLenInByte = 5760
; NumSgprs: 34
; NumVgprs: 45
; ScratchSize: 0
; MemoryBound: 0
; FloatMode: 240
; IeeeMode: 1
; LDSByteSize: 0 bytes/workgroup (compile time only)
; SGPRBlocks: 4
; VGPRBlocks: 5
; NumSGPRsForWavesPerEU: 34
; NumVGPRsForWavesPerEU: 45
; Occupancy: 16
; WaveLimiterHint : 1
; COMPUTE_PGM_RSRC2:SCRATCH_EN: 0
; COMPUTE_PGM_RSRC2:USER_SGPR: 2
; COMPUTE_PGM_RSRC2:TRAP_HANDLER: 0
; COMPUTE_PGM_RSRC2:TGID_X_EN: 1
; COMPUTE_PGM_RSRC2:TGID_Y_EN: 0
; COMPUTE_PGM_RSRC2:TGID_Z_EN: 0
; COMPUTE_PGM_RSRC2:TIDIG_COMP_CNT: 0
	.text
	.p2alignl 7, 3214868480
	.fill 96, 4, 3214868480
	.type	__hip_cuid_6ecdffb5921e683,@object ; @__hip_cuid_6ecdffb5921e683
	.section	.bss,"aw",@nobits
	.globl	__hip_cuid_6ecdffb5921e683
__hip_cuid_6ecdffb5921e683:
	.byte	0                               ; 0x0
	.size	__hip_cuid_6ecdffb5921e683, 1

	.ident	"AMD clang version 19.0.0git (https://github.com/RadeonOpenCompute/llvm-project roc-6.4.0 25133 c7fe45cf4b819c5991fe208aaa96edf142730f1d)"
	.section	".note.GNU-stack","",@progbits
	.addrsig
	.addrsig_sym __hip_cuid_6ecdffb5921e683
	.amdgpu_metadata
---
amdhsa.kernels:
  - .args:
      - .actual_access:  read_only
        .address_space:  global
        .offset:         0
        .size:           8
        .value_kind:     global_buffer
      - .offset:         8
        .size:           8
        .value_kind:     by_value
      - .actual_access:  read_only
        .address_space:  global
        .offset:         16
        .size:           8
        .value_kind:     global_buffer
      - .actual_access:  read_only
        .address_space:  global
        .offset:         24
        .size:           8
        .value_kind:     global_buffer
      - .offset:         32
        .size:           8
        .value_kind:     by_value
      - .actual_access:  read_only
        .address_space:  global
        .offset:         40
        .size:           8
        .value_kind:     global_buffer
      - .actual_access:  read_only
        .address_space:  global
        .offset:         48
        .size:           8
        .value_kind:     global_buffer
      - .offset:         56
        .size:           4
        .value_kind:     by_value
      - .actual_access:  read_only
        .address_space:  global
        .offset:         64
        .size:           8
        .value_kind:     global_buffer
      - .actual_access:  read_only
        .address_space:  global
        .offset:         72
        .size:           8
        .value_kind:     global_buffer
      - .address_space:  global
        .offset:         80
        .size:           8
        .value_kind:     global_buffer
    .group_segment_fixed_size: 0
    .kernarg_segment_align: 8
    .kernarg_segment_size: 88
    .language:       OpenCL C
    .language_version:
      - 2
      - 0
    .max_flat_workgroup_size: 210
    .name:           fft_rtc_fwd_len1050_factors_2_3_5_5_7_wgs_210_tpt_210_sp_ip_CI_unitstride_sbrr_R2C_dirReg
    .private_segment_fixed_size: 0
    .sgpr_count:     34
    .sgpr_spill_count: 0
    .symbol:         fft_rtc_fwd_len1050_factors_2_3_5_5_7_wgs_210_tpt_210_sp_ip_CI_unitstride_sbrr_R2C_dirReg.kd
    .uniform_work_group_size: 1
    .uses_dynamic_stack: false
    .vgpr_count:     45
    .vgpr_spill_count: 0
    .wavefront_size: 32
    .workgroup_processor_mode: 1
amdhsa.target:   amdgcn-amd-amdhsa--gfx1201
amdhsa.version:
  - 1
  - 2
...

	.end_amdgpu_metadata
